;; amdgpu-corpus repo=ROCm/rocFFT kind=compiled arch=gfx1201 opt=O3
	.text
	.amdgcn_target "amdgcn-amd-amdhsa--gfx1201"
	.amdhsa_code_object_version 6
	.protected	fft_rtc_back_len125_factors_5_5_5_wgs_250_tpt_25_half_op_CI_CI_sbrc_unaligned_dirReg ; -- Begin function fft_rtc_back_len125_factors_5_5_5_wgs_250_tpt_25_half_op_CI_CI_sbrc_unaligned_dirReg
	.globl	fft_rtc_back_len125_factors_5_5_5_wgs_250_tpt_25_half_op_CI_CI_sbrc_unaligned_dirReg
	.p2align	8
	.type	fft_rtc_back_len125_factors_5_5_5_wgs_250_tpt_25_half_op_CI_CI_sbrc_unaligned_dirReg,@function
fft_rtc_back_len125_factors_5_5_5_wgs_250_tpt_25_half_op_CI_CI_sbrc_unaligned_dirReg: ; @fft_rtc_back_len125_factors_5_5_5_wgs_250_tpt_25_half_op_CI_CI_sbrc_unaligned_dirReg
; %bb.0:
	s_clause 0x1
	s_load_b256 s[4:11], s[0:1], 0x0
	s_load_b64 s[26:27], s[0:1], 0x20
	s_mov_b32 s31, 0
	s_mov_b64 s[36:37], 2
	s_mov_b32 s23, s31
	s_wait_kmcnt 0x0
	s_load_b32 s33, s[8:9], 0x8
	s_load_b128 s[16:19], s[10:11], 0x0
	s_load_b128 s[12:15], s[26:27], 0x0
	s_wait_kmcnt 0x0
	s_add_co_i32 s2, s33, -1
	s_delay_alu instid0(SALU_CYCLE_1) | instskip(NEXT) | instid1(SALU_CYCLE_1)
	s_mul_hi_u32 s2, s2, 0xcccccccd
	s_lshr_b32 s2, s2, 3
	s_delay_alu instid0(SALU_CYCLE_1) | instskip(NEXT) | instid1(SALU_CYCLE_1)
	s_add_co_i32 s42, s2, 1
	s_cvt_f32_u32 s2, s42
	s_sub_co_i32 s3, 0, s42
	s_delay_alu instid0(SALU_CYCLE_2) | instskip(NEXT) | instid1(TRANS32_DEP_1)
	v_rcp_iflag_f32_e32 v1, s2
	v_readfirstlane_b32 s2, v1
	s_delay_alu instid0(VALU_DEP_1) | instskip(SKIP_1) | instid1(SALU_CYCLE_2)
	s_mul_f32 s2, s2, 0x4f7ffffe
	s_wait_alu 0xfffe
	s_cvt_u32_f32 s2, s2
	s_wait_alu 0xfffe
	s_delay_alu instid0(SALU_CYCLE_2)
	s_mul_i32 s3, s3, s2
	s_wait_alu 0xfffe
	s_mul_hi_u32 s3, s2, s3
	s_wait_alu 0xfffe
	s_add_co_i32 s2, s2, s3
	s_wait_alu 0xfffe
	s_mul_hi_u32 s3, ttmp9, s2
	s_wait_alu 0xfffe
	s_mul_i32 s2, s3, s42
	s_add_co_i32 s19, s3, 1
	s_wait_alu 0xfffe
	s_sub_co_i32 s15, ttmp9, s2
	s_mov_b32 s2, 3
	s_sub_co_i32 s20, s15, s42
	s_cmp_ge_u32 s15, s42
	s_cselect_b32 s3, s19, s3
	s_cselect_b32 s15, s20, s15
	s_wait_alu 0xfffe
	s_add_co_i32 s19, s3, 1
	s_cmp_ge_u32 s15, s42
	s_cselect_b32 s24, s19, s3
	v_cmp_gt_u64_e64 s3, s[6:7], 2
	s_mul_i32 s15, s24, s42
	s_delay_alu instid0(SALU_CYCLE_1) | instskip(NEXT) | instid1(SALU_CYCLE_1)
	s_sub_co_i32 s15, ttmp9, s15
	s_mul_i32 s22, s15, 10
	s_delay_alu instid0(VALU_DEP_1)
	s_and_b32 vcc_lo, exec_lo, s3
	s_mul_i32 s30, s22, s18
	s_mul_u64 s[20:21], s[12:13], s[22:23]
	s_cbranch_vccz .LBB0_8
; %bb.1:
	s_mov_b32 s34, ttmp9
	s_mov_b32 s35, s31
	s_mov_b64 s[28:29], s[30:31]
	s_mov_b32 s30, s24
.LBB0_2:                                ; =>This Inner Loop Header: Depth=1
	s_lshl_b64 s[36:37], s[36:37], 3
	s_mov_b32 s38, s31
	s_add_nc_u64 s[24:25], s[8:9], s[36:37]
	s_load_b64 s[24:25], s[24:25], 0x0
	s_wait_kmcnt 0x0
	s_mov_b32 s39, s25
	s_delay_alu instid0(SALU_CYCLE_1)
	s_cmp_lg_u64 s[38:39], 0
	s_cbranch_scc0 .LBB0_7
; %bb.3:                                ;   in Loop: Header=BB0_2 Depth=1
	s_cvt_f32_u32 s3, s24
	s_cvt_f32_u32 s15, s25
	s_sub_nc_u64 s[44:45], 0, s[24:25]
	s_mov_b32 s39, 0
	s_mov_b32 s49, s31
	s_wait_alu 0xfffe
	s_fmamk_f32 s3, s15, 0x4f800000, s3
	s_wait_alu 0xfffe
	s_delay_alu instid0(SALU_CYCLE_2) | instskip(NEXT) | instid1(TRANS32_DEP_1)
	v_s_rcp_f32 s3, s3
	s_mul_f32 s3, s3, 0x5f7ffffc
	s_wait_alu 0xfffe
	s_delay_alu instid0(SALU_CYCLE_2) | instskip(NEXT) | instid1(SALU_CYCLE_3)
	s_mul_f32 s15, s3, 0x2f800000
	s_trunc_f32 s15, s15
	s_delay_alu instid0(SALU_CYCLE_3) | instskip(SKIP_2) | instid1(SALU_CYCLE_1)
	s_fmamk_f32 s3, s15, 0xcf800000, s3
	s_cvt_u32_f32 s41, s15
	s_wait_alu 0xfffe
	s_cvt_u32_f32 s40, s3
	s_wait_alu 0xfffe
	s_delay_alu instid0(SALU_CYCLE_2)
	s_mul_u64 s[46:47], s[44:45], s[40:41]
	s_wait_alu 0xfffe
	s_mul_hi_u32 s51, s40, s47
	s_mul_i32 s50, s40, s47
	s_mul_hi_u32 s38, s40, s46
	s_mul_i32 s15, s41, s46
	s_add_nc_u64 s[50:51], s[38:39], s[50:51]
	s_mul_hi_u32 s3, s41, s46
	s_mul_hi_u32 s19, s41, s47
	s_add_co_u32 s15, s50, s15
	s_wait_alu 0xfffe
	s_add_co_ci_u32 s48, s51, s3
	s_mul_i32 s46, s41, s47
	s_add_co_ci_u32 s47, s19, 0
	s_wait_alu 0xfffe
	s_add_nc_u64 s[46:47], s[48:49], s[46:47]
	s_wait_alu 0xfffe
	v_add_co_u32 v1, s3, s40, s46
	s_delay_alu instid0(VALU_DEP_1) | instskip(SKIP_1) | instid1(VALU_DEP_1)
	s_cmp_lg_u32 s3, 0
	s_add_co_ci_u32 s41, s41, s47
	v_readfirstlane_b32 s40, v1
	s_mov_b32 s47, s31
	s_wait_alu 0xfffe
	s_delay_alu instid0(VALU_DEP_1)
	s_mul_u64 s[44:45], s[44:45], s[40:41]
	s_wait_alu 0xfffe
	s_mul_hi_u32 s49, s40, s45
	s_mul_i32 s48, s40, s45
	s_mul_hi_u32 s38, s40, s44
	s_mul_i32 s15, s41, s44
	s_add_nc_u64 s[48:49], s[38:39], s[48:49]
	s_mul_hi_u32 s3, s41, s44
	s_mul_hi_u32 s19, s41, s45
	s_add_co_u32 s15, s48, s15
	s_wait_alu 0xfffe
	s_add_co_ci_u32 s46, s49, s3
	s_mul_i32 s44, s41, s45
	s_add_co_ci_u32 s45, s19, 0
	s_wait_alu 0xfffe
	s_add_nc_u64 s[44:45], s[46:47], s[44:45]
	s_mov_b32 s46, s31
	s_wait_alu 0xfffe
	v_add_co_u32 v1, s3, v1, s44
	s_delay_alu instid0(VALU_DEP_1) | instskip(SKIP_1) | instid1(VALU_DEP_1)
	s_cmp_lg_u32 s3, 0
	s_add_co_ci_u32 s15, s41, s45
	v_readfirstlane_b32 s3, v1
	s_mul_hi_u32 s45, s30, s15
	s_mul_i32 s44, s30, s15
	s_mov_b32 s41, s31
	s_delay_alu instid0(VALU_DEP_1)
	s_mul_hi_u32 s38, s30, s3
	s_wait_alu 0xfffe
	s_add_nc_u64 s[44:45], s[38:39], s[44:45]
	s_wait_alu 0xfffe
	s_mov_b32 s40, s45
	s_wait_alu 0xfffe
	s_or_b64 s[40:41], s[40:41], s[46:47]
	s_mov_b32 s40, s45
	s_wait_alu 0xfffe
	s_mul_u64 s[46:47], s[24:25], s[40:41]
	s_add_nc_u64 s[48:49], s[40:41], 1
	s_wait_alu 0xfffe
	v_sub_co_u32 v1, s3, s30, s46
	s_sub_co_i32 s15, 0, s47
	s_cmp_lg_u32 s3, 0
	s_add_nc_u64 s[50:51], s[40:41], 2
	s_delay_alu instid0(VALU_DEP_1) | instskip(SKIP_2) | instid1(VALU_DEP_1)
	v_sub_co_u32 v2, s19, v1, s24
	s_sub_co_ci_u32 s15, s15, s25
	s_cmp_lg_u32 s19, 0
	v_readfirstlane_b32 s19, v2
	s_sub_co_ci_u32 s15, s15, 0
	s_delay_alu instid0(SALU_CYCLE_1) | instskip(SKIP_1) | instid1(VALU_DEP_1)
	s_cmp_ge_u32 s15, s25
	s_cselect_b32 s23, -1, 0
	s_cmp_ge_u32 s19, s24
	s_cselect_b32 s19, -1, 0
	s_cmp_eq_u32 s15, s25
	s_cselect_b32 s15, s19, s23
	s_delay_alu instid0(SALU_CYCLE_1)
	s_cmp_lg_u32 s15, 0
	s_cselect_b32 s15, s50, s48
	s_cselect_b32 s19, s51, s49
	s_cmp_lg_u32 s3, 0
	v_readfirstlane_b32 s3, v1
	s_sub_co_ci_u32 s23, 0, s47
	s_delay_alu instid0(SALU_CYCLE_1) | instskip(SKIP_1) | instid1(VALU_DEP_1)
	s_cmp_ge_u32 s23, s25
	s_cselect_b32 s38, -1, 0
	s_cmp_ge_u32 s3, s24
	s_cselect_b32 s3, -1, 0
	s_cmp_eq_u32 s23, s25
	s_wait_alu 0xfffe
	s_cselect_b32 s3, s3, s38
	s_wait_alu 0xfffe
	s_cmp_lg_u32 s3, 0
	s_cselect_b32 s41, s19, s41
	s_cselect_b32 s40, s15, s45
	s_cbranch_execnz .LBB0_5
.LBB0_4:                                ;   in Loop: Header=BB0_2 Depth=1
	v_cvt_f32_u32_e32 v1, s24
	s_sub_co_i32 s15, 0, s24
	s_mov_b32 s41, s31
	s_delay_alu instid0(VALU_DEP_1) | instskip(NEXT) | instid1(TRANS32_DEP_1)
	v_rcp_iflag_f32_e32 v1, v1
	v_mul_f32_e32 v1, 0x4f7ffffe, v1
	s_delay_alu instid0(VALU_DEP_1) | instskip(NEXT) | instid1(VALU_DEP_1)
	v_cvt_u32_f32_e32 v1, v1
	v_readfirstlane_b32 s3, v1
	s_delay_alu instid0(VALU_DEP_1) | instskip(NEXT) | instid1(SALU_CYCLE_1)
	s_mul_i32 s15, s15, s3
	s_mul_hi_u32 s15, s3, s15
	s_delay_alu instid0(SALU_CYCLE_1)
	s_add_co_i32 s3, s3, s15
	s_wait_alu 0xfffe
	s_mul_hi_u32 s3, s30, s3
	s_wait_alu 0xfffe
	s_mul_i32 s15, s3, s24
	s_add_co_i32 s19, s3, 1
	s_sub_co_i32 s15, s30, s15
	s_delay_alu instid0(SALU_CYCLE_1)
	s_sub_co_i32 s23, s15, s24
	s_cmp_ge_u32 s15, s24
	s_cselect_b32 s3, s19, s3
	s_cselect_b32 s15, s23, s15
	s_wait_alu 0xfffe
	s_add_co_i32 s19, s3, 1
	s_cmp_ge_u32 s15, s24
	s_cselect_b32 s40, s19, s3
.LBB0_5:                                ;   in Loop: Header=BB0_2 Depth=1
	s_add_nc_u64 s[38:39], s[10:11], s[36:37]
	s_add_nc_u64 s[36:37], s[26:27], s[36:37]
	s_load_b64 s[38:39], s[38:39], 0x0
	s_load_b64 s[44:45], s[36:37], 0x0
	s_mov_b32 s3, s31
	s_mul_u64 s[36:37], s[40:41], s[24:25]
	s_wait_alu 0xfffe
	v_cmp_ge_u64_e64 s15, s[2:3], s[6:7]
	s_mul_i32 s42, s42, s24
	s_sub_nc_u64 s[24:25], s[30:31], s[36:37]
	s_mov_b64 s[36:37], s[2:3]
	s_add_co_i32 s2, s2, 1
	s_delay_alu instid0(VALU_DEP_1)
	s_and_b32 vcc_lo, exec_lo, s15
	s_wait_kmcnt 0x0
	s_wait_alu 0xfffe
	s_mul_u64 s[38:39], s[38:39], s[24:25]
	s_mul_u64 s[24:25], s[44:45], s[24:25]
	s_add_nc_u64 s[28:29], s[38:39], s[28:29]
	s_wait_alu 0xfffe
	s_add_nc_u64 s[20:21], s[24:25], s[20:21]
	s_cbranch_vccnz .LBB0_9
; %bb.6:                                ;   in Loop: Header=BB0_2 Depth=1
	s_mov_b32 s30, s40
	s_branch .LBB0_2
.LBB0_7:                                ;   in Loop: Header=BB0_2 Depth=1
                                        ; implicit-def: $sgpr40_sgpr41
	s_branch .LBB0_4
.LBB0_8:
	s_mov_b64 s[28:29], s[30:31]
	s_branch .LBB0_10
.LBB0_9:
	s_cvt_f32_u32 s2, s42
	s_sub_co_i32 s3, 0, s42
	s_wait_alu 0xfffe
	s_delay_alu instid0(SALU_CYCLE_1) | instskip(NEXT) | instid1(TRANS32_DEP_1)
	v_rcp_iflag_f32_e32 v1, s2
	v_readfirstlane_b32 s2, v1
	s_delay_alu instid0(VALU_DEP_1) | instskip(SKIP_1) | instid1(SALU_CYCLE_2)
	s_mul_f32 s2, s2, 0x4f7ffffe
	s_wait_alu 0xfffe
	s_cvt_u32_f32 s2, s2
	s_wait_alu 0xfffe
	s_delay_alu instid0(SALU_CYCLE_2)
	s_mul_i32 s3, s3, s2
	s_wait_alu 0xfffe
	s_mul_hi_u32 s8, s2, s3
	s_mov_b32 s3, 0
	s_add_co_i32 s2, s2, s8
	s_wait_alu 0xfffe
	s_mul_u64 s[2:3], s[34:35], s[2:3]
	s_wait_alu 0xfffe
	s_mul_i32 s2, s3, s42
	s_add_co_i32 s8, s3, 1
	s_wait_alu 0xfffe
	s_sub_co_i32 s2, ttmp9, s2
	s_wait_alu 0xfffe
	s_sub_co_i32 s9, s2, s42
	s_cmp_ge_u32 s2, s42
	s_cselect_b32 s3, s8, s3
	s_cselect_b32 s2, s9, s2
	s_wait_alu 0xfffe
	s_add_co_i32 s8, s3, 1
	s_cmp_ge_u32 s2, s42
	s_cselect_b32 s24, s8, s3
.LBB0_10:
	s_lshl_b64 s[6:7], s[6:7], 3
	v_mul_u32_u24_e32 v1, 0x20d, v0
	s_wait_alu 0xfffe
	s_add_nc_u64 s[8:9], s[10:11], s[6:7]
	s_add_nc_u64 s[6:7], s[26:27], s[6:7]
	s_load_b64 s[8:9], s[8:9], 0x0
	s_load_b128 s[0:3], s[0:1], 0x58
	s_load_b64 s[6:7], s[6:7], 0x0
	v_lshrrev_b32_e32 v3, 16, v1
	s_add_co_i32 s10, s22, 10
	s_mov_b32 s25, 0
	s_cmp_le_u32 s10, s33
	s_mov_b32 s11, -1
	v_mul_lo_u16 v1, 0x7d, v3
	s_cselect_b32 s10, -1, 0
	s_delay_alu instid0(SALU_CYCLE_1) | instskip(NEXT) | instid1(VALU_DEP_1)
	s_and_b32 vcc_lo, exec_lo, s10
	v_sub_nc_u16 v1, v0, v1
	s_delay_alu instid0(VALU_DEP_1) | instskip(SKIP_3) | instid1(SALU_CYCLE_1)
	v_and_b32_e32 v4, 0xffff, v1
	s_wait_kmcnt 0x0
	s_wait_alu 0xfffe
	s_mul_u64 s[8:9], s[8:9], s[24:25]
	s_add_nc_u64 s[8:9], s[8:9], s[28:29]
	s_cbranch_vccnz .LBB0_15
; %bb.11:
	v_add_nc_u32_e32 v5, s22, v3
	s_mov_b32 s11, exec_lo
	s_delay_alu instid0(VALU_DEP_1)
	v_cmpx_gt_u32_e64 s33, v5
	s_cbranch_execz .LBB0_14
; %bb.12:
	v_mad_co_u64_u32 v[1:2], null, s16, v4, 0
	s_lshl_b64 s[26:27], s[8:9], 2
	s_mov_b32 s15, 0
	s_add_nc_u64 s[26:27], s[0:1], s[26:27]
	s_lshl_b32 s19, s18, 1
	v_lshlrev_b32_e32 v9, 2, v3
	s_delay_alu instid0(VALU_DEP_2) | instskip(NEXT) | instid1(VALU_DEP_1)
	v_mad_co_u64_u32 v[6:7], null, s17, v4, v[2:3]
	v_mov_b32_e32 v2, v6
	v_mul_u32_u24_e32 v6, 40, v4
	s_delay_alu instid0(VALU_DEP_2) | instskip(SKIP_1) | instid1(VALU_DEP_3)
	v_lshlrev_b64_e32 v[7:8], 2, v[1:2]
	v_mul_lo_u32 v1, v3, s18
	v_add3_u32 v6, v6, v9, 0
	v_mov_b32_e32 v2, 0
	s_delay_alu instid0(VALU_DEP_4)
	v_add_co_u32 v7, vcc_lo, s26, v7
	v_add_co_ci_u32_e32 v8, vcc_lo, s27, v8, vcc_lo
.LBB0_13:                               ; =>This Inner Loop Header: Depth=1
	s_delay_alu instid0(VALU_DEP_3) | instskip(SKIP_2) | instid1(VALU_DEP_3)
	v_lshlrev_b64_e32 v[9:10], 2, v[1:2]
	v_add_nc_u32_e32 v5, 2, v5
	v_add_nc_u32_e32 v1, s19, v1
	v_add_co_u32 v9, vcc_lo, v7, v9
	s_wait_alu 0xfffd
	s_delay_alu instid0(VALU_DEP_4)
	v_add_co_ci_u32_e32 v10, vcc_lo, v8, v10, vcc_lo
	v_cmp_le_u32_e32 vcc_lo, s33, v5
	global_load_b32 v9, v[9:10], off
	s_or_b32 s15, vcc_lo, s15
	s_wait_loadcnt 0x0
	ds_store_b32 v6, v9
	v_add_nc_u32_e32 v6, 8, v6
	s_and_not1_b32 exec_lo, exec_lo, s15
	s_cbranch_execnz .LBB0_13
.LBB0_14:
	s_or_b32 exec_lo, exec_lo, s11
	s_mov_b32 s11, 0
.LBB0_15:
	s_delay_alu instid0(SALU_CYCLE_1)
	s_and_not1_b32 vcc_lo, exec_lo, s11
	s_wait_alu 0xfffe
	s_cbranch_vccnz .LBB0_17
; %bb.16:
	v_mad_co_u64_u32 v[1:2], null, s16, v4, 0
	v_mul_lo_u32 v5, s18, v3
	s_lshl_b32 s11, s18, 1
	v_mov_b32_e32 v6, 0
	s_lshl_b64 s[8:9], s[8:9], 2
	s_delay_alu instid0(SALU_CYCLE_1) | instskip(NEXT) | instid1(VALU_DEP_3)
	s_add_nc_u64 s[0:1], s[0:1], s[8:9]
	v_mad_co_u64_u32 v[9:10], null, s17, v4, v[2:3]
	s_delay_alu instid0(VALU_DEP_2) | instskip(SKIP_2) | instid1(VALU_DEP_2)
	v_lshlrev_b64_e32 v[7:8], 2, v[5:6]
	v_add_nc_u32_e32 v5, s11, v5
	v_lshlrev_b32_e32 v3, 2, v3
	v_lshlrev_b64_e32 v[10:11], 2, v[5:6]
	v_dual_mov_b32 v2, v9 :: v_dual_add_nc_u32 v5, s11, v5
	s_delay_alu instid0(VALU_DEP_1) | instskip(NEXT) | instid1(VALU_DEP_2)
	v_lshlrev_b64_e32 v[12:13], 2, v[5:6]
	v_lshlrev_b64_e32 v[1:2], 2, v[1:2]
	v_add_nc_u32_e32 v5, s11, v5
	s_delay_alu instid0(VALU_DEP_1) | instskip(SKIP_1) | instid1(VALU_DEP_4)
	v_lshlrev_b64_e32 v[14:15], 2, v[5:6]
	v_add_nc_u32_e32 v5, s11, v5
	v_add_co_u32 v16, vcc_lo, s0, v1
	s_wait_alu 0xfffd
	v_add_co_ci_u32_e32 v17, vcc_lo, s1, v2, vcc_lo
	s_delay_alu instid0(VALU_DEP_3) | instskip(NEXT) | instid1(VALU_DEP_3)
	v_lshlrev_b64_e32 v[1:2], 2, v[5:6]
	v_add_co_u32 v5, vcc_lo, v16, v7
	s_wait_alu 0xfffd
	s_delay_alu instid0(VALU_DEP_3)
	v_add_co_ci_u32_e32 v6, vcc_lo, v17, v8, vcc_lo
	v_add_co_u32 v7, vcc_lo, v16, v10
	s_wait_alu 0xfffd
	v_add_co_ci_u32_e32 v8, vcc_lo, v17, v11, vcc_lo
	v_add_co_u32 v9, vcc_lo, v16, v12
	s_wait_alu 0xfffd
	;; [unrolled: 3-line block ×4, first 2 shown]
	v_add_co_ci_u32_e32 v2, vcc_lo, v17, v2, vcc_lo
	s_clause 0x4
	global_load_b32 v5, v[5:6], off
	global_load_b32 v6, v[7:8], off
	;; [unrolled: 1-line block ×5, first 2 shown]
	v_mul_u32_u24_e32 v2, 40, v4
	s_delay_alu instid0(VALU_DEP_1)
	v_add3_u32 v2, 0, v2, v3
	s_wait_loadcnt 0x3
	ds_store_2addr_b32 v2, v5, v6 offset1:2
	s_wait_loadcnt 0x1
	ds_store_2addr_b32 v2, v7, v8 offset0:4 offset1:6
	s_wait_loadcnt 0x0
	ds_store_b32 v2, v1 offset:32
.LBB0_17:
	v_and_b32_e32 v1, 0xffff, v0
	v_mul_hi_u32 v4, 0x1999999a, v0
	global_wb scope:SCOPE_SE
	s_wait_dscnt 0x0
	s_barrier_signal -1
	s_barrier_wait -1
	v_mul_u32_u24_e32 v1, 0x199a, v1
	global_inv scope:SCOPE_SE
	v_mul_u32_u24_e32 v2, 40, v4
	v_lshrrev_b32_e32 v1, 16, v1
	v_mul_hi_u32 v9, 0x33333334, v4
	s_delay_alu instid0(VALU_DEP_2) | instskip(NEXT) | instid1(VALU_DEP_2)
	v_mul_lo_u16 v1, v1, 10
	v_mul_u32_u24_e32 v9, 5, v9
	s_delay_alu instid0(VALU_DEP_2) | instskip(NEXT) | instid1(VALU_DEP_2)
	v_sub_nc_u16 v1, v0, v1
	v_sub_nc_u32_e32 v14, v4, v9
	s_delay_alu instid0(VALU_DEP_2) | instskip(NEXT) | instid1(VALU_DEP_2)
	v_and_b32_e32 v1, 0xffff, v1
	v_lshlrev_b32_e32 v9, 4, v14
	s_delay_alu instid0(VALU_DEP_2) | instskip(NEXT) | instid1(VALU_DEP_1)
	v_lshlrev_b32_e32 v13, 2, v1
	v_add3_u32 v2, 0, v2, v13
	s_delay_alu instid0(VALU_DEP_1)
	v_add_nc_u32_e32 v3, 0x7c0, v2
	ds_load_2addr_b32 v[5:6], v2 offset1:250
	v_mad_u32_u24 v11, 0xa0, v4, v2
	ds_load_b32 v10, v2 offset:4000
	ds_load_2addr_b32 v[7:8], v3 offset0:4 offset1:254
	global_wb scope:SCOPE_SE
	s_wait_dscnt 0x0
	s_barrier_signal -1
	s_barrier_wait -1
	global_inv scope:SCOPE_SE
	v_pk_add_f16 v12, v5, v6
	v_pk_add_f16 v15, v6, v10 neg_lo:[0,1] neg_hi:[0,1]
	v_pk_add_f16 v16, v6, v10
	v_pk_add_f16 v17, v7, v8
	v_pk_add_f16 v19, v7, v8 neg_lo:[0,1] neg_hi:[0,1]
	v_pk_add_f16 v12, v12, v7
	v_pk_mul_f16 v18, 0x3b9c, v15 op_sel_hi:[0,1]
	v_pk_fma_f16 v16, v16, 0.5, v5 op_sel_hi:[1,0,1] neg_lo:[1,0,0] neg_hi:[1,0,0]
	v_pk_fma_f16 v5, v17, 0.5, v5 op_sel_hi:[1,0,1] neg_lo:[1,0,0] neg_hi:[1,0,0]
	v_pk_add_f16 v20, v6, v7 neg_lo:[0,1] neg_hi:[0,1]
	v_pk_add_f16 v6, v7, v6 neg_lo:[0,1] neg_hi:[0,1]
	v_pk_mul_f16 v7, 0x3b9c, v19 op_sel_hi:[0,1]
	v_pk_mul_f16 v17, 0x38b4, v19 op_sel_hi:[0,1]
	v_pk_add_f16 v19, v5, v18 op_sel:[0,1] op_sel_hi:[1,0] neg_lo:[0,1] neg_hi:[0,1]
	v_pk_add_f16 v5, v5, v18 op_sel:[0,1] op_sel_hi:[1,0]
	v_pk_mul_f16 v15, 0x38b4, v15 op_sel_hi:[0,1]
	v_pk_add_f16 v18, v16, v7 op_sel:[0,1] op_sel_hi:[1,0]
	v_pk_add_f16 v7, v16, v7 op_sel:[0,1] op_sel_hi:[1,0] neg_lo:[0,1] neg_hi:[0,1]
	v_pk_add_f16 v21, v10, v8 neg_lo:[0,1] neg_hi:[0,1]
	v_pk_add_f16 v19, v19, v17 op_sel:[0,1] op_sel_hi:[1,0] neg_lo:[0,1] neg_hi:[0,1]
	v_pk_add_f16 v5, v5, v17 op_sel:[0,1] op_sel_hi:[1,0]
	v_pk_add_f16 v16, v8, v10 neg_lo:[0,1] neg_hi:[0,1]
	v_pk_add_f16 v17, v18, v15 op_sel:[0,1] op_sel_hi:[1,0] neg_lo:[0,1] neg_hi:[0,1]
	v_pk_add_f16 v7, v7, v15 op_sel:[0,1] op_sel_hi:[1,0]
	v_pk_add_f16 v8, v12, v8
	v_pk_add_f16 v12, v20, v21
	v_bfi_b32 v15, 0xffff, v19, v5
	v_pk_add_f16 v6, v6, v16
	v_bfi_b32 v16, 0xffff, v17, v7
	v_bfi_b32 v7, 0xffff, v7, v17
	;; [unrolled: 1-line block ×3, first 2 shown]
	v_pk_add_f16 v8, v8, v10
	v_pk_fma_f16 v10, 0x34f2, v12, v15 op_sel_hi:[0,1,1]
	v_pk_fma_f16 v15, 0x34f2, v6, v16 op_sel_hi:[0,1,1]
	;; [unrolled: 1-line block ×4, first 2 shown]
	ds_store_2addr_b32 v11, v8, v10 offset1:10
	ds_store_2addr_b32 v11, v15, v6 offset0:20 offset1:30
	ds_store_b32 v11, v5 offset:160
	global_wb scope:SCOPE_SE
	s_wait_dscnt 0x0
	s_barrier_signal -1
	s_barrier_wait -1
	global_inv scope:SCOPE_SE
	global_load_b128 v[5:8], v9, s[4:5]
	ds_load_2addr_b32 v[9:10], v2 offset1:250
	ds_load_2addr_b32 v[11:12], v3 offset0:4 offset1:254
	ds_load_b32 v16, v2 offset:4000
	v_mul_hi_u32 v15, 0x51eb852, v0
	s_delay_alu instid0(VALU_DEP_1) | instskip(SKIP_1) | instid1(VALU_DEP_2)
	v_mad_u32_u24 v14, v15, 25, v14
	v_add_nc_u32_e32 v15, s22, v1
	v_mul_i32_i24_e32 v14, 40, v14
	s_delay_alu instid0(VALU_DEP_2)
	v_cmp_gt_u32_e32 vcc_lo, s33, v15
	ds_load_u16 v15, v2 offset:2
	global_wb scope:SCOPE_SE
	s_wait_loadcnt_dscnt 0x0
	s_barrier_signal -1
	v_add3_u32 v13, 0, v14, v13
	v_lshrrev_b32_e32 v14, 16, v10
	v_lshrrev_b32_e32 v17, 16, v11
	;; [unrolled: 1-line block ×4, first 2 shown]
	s_or_b32 s0, s10, vcc_lo
	s_barrier_wait -1
	global_inv scope:SCOPE_SE
	v_lshrrev_b32_e32 v19, 16, v5
	v_lshrrev_b32_e32 v21, 16, v6
	v_lshrrev_b32_e32 v22, 16, v7
	v_lshrrev_b32_e32 v23, 16, v8
	s_delay_alu instid0(VALU_DEP_4)
	v_mul_f16_e32 v24, v19, v14
	v_mul_f16_e32 v19, v19, v10
	;; [unrolled: 1-line block ×8, first 2 shown]
	v_fmac_f16_e32 v24, v5, v10
	v_fma_f16 v5, v5, v14, -v19
	v_fmac_f16_e32 v25, v6, v11
	v_fma_f16 v6, v6, v17, -v21
	;; [unrolled: 2-line block ×4, first 2 shown]
	v_add_f16_e32 v21, v15, v5
	v_add_f16_e32 v11, v25, v26
	;; [unrolled: 1-line block ×6, first 2 shown]
	v_sub_f16_e32 v12, v5, v10
	v_sub_f16_e32 v14, v6, v7
	;; [unrolled: 1-line block ×9, first 2 shown]
	v_fma_f16 v11, -0.5, v11, v9
	v_fmac_f16_e32 v9, -0.5, v18
	v_add_f16_e32 v6, v21, v6
	v_fma_f16 v18, -0.5, v22, v15
	v_sub_f16_e32 v24, v25, v26
	v_fmac_f16_e32 v15, -0.5, v30
	v_sub_f16_e32 v29, v10, v7
	v_sub_f16_e32 v31, v7, v10
	v_add_f16_e32 v8, v8, v25
	v_add_f16_e32 v16, v16, v17
	;; [unrolled: 1-line block ×3, first 2 shown]
	v_fmamk_f16 v20, v12, 0xbb9c, v11
	v_add_f16_e32 v6, v6, v7
	v_fmamk_f16 v7, v23, 0x3b9c, v18
	v_fmamk_f16 v21, v14, 0x3b9c, v9
	v_fmac_f16_e32 v9, 0xbb9c, v14
	v_fmamk_f16 v22, v24, 0xbb9c, v15
	v_fmac_f16_e32 v15, 0x3b9c, v24
	v_fmac_f16_e32 v11, 0x3b9c, v12
	;; [unrolled: 1-line block ×3, first 2 shown]
	v_add_f16_e32 v19, v28, v29
	v_add_f16_e32 v8, v8, v26
	v_fmac_f16_e32 v20, 0xb8b4, v14
	v_fmac_f16_e32 v7, 0x38b4, v24
	v_add_f16_e32 v5, v5, v31
	v_fmac_f16_e32 v21, 0xb8b4, v12
	v_fmac_f16_e32 v9, 0x38b4, v12
	;; [unrolled: 1-line block ×6, first 2 shown]
	v_add_f16_e32 v8, v8, v27
	v_add_f16_e32 v6, v6, v10
	v_fmac_f16_e32 v20, 0x34f2, v16
	v_fmac_f16_e32 v7, 0x34f2, v19
	;; [unrolled: 1-line block ×8, first 2 shown]
	v_pack_b32_f16 v5, v8, v6
	v_pack_b32_f16 v6, v20, v7
	;; [unrolled: 1-line block ×5, first 2 shown]
	ds_store_2addr_b32 v13, v5, v6 offset1:50
	ds_store_2addr_b32 v13, v7, v8 offset0:100 offset1:150
	ds_store_b32 v13, v9 offset:800
	global_wb scope:SCOPE_SE
	s_wait_dscnt 0x0
	s_barrier_signal -1
	s_barrier_wait -1
	global_inv scope:SCOPE_SE
	s_wait_alu 0xfffe
	s_and_saveexec_b32 s1, s0
	s_cbranch_execz .LBB0_19
; %bb.18:
	v_mul_hi_u32 v5, 0xa3d70a4, v4
	v_mad_co_u64_u32 v[8:9], null, s12, v1, 0
	s_mul_u64 s[0:1], s[6:7], s[24:25]
	s_wait_alu 0xfffe
	s_lshl_b64 s[0:1], s[0:1], 2
	s_wait_alu 0xfffe
	s_add_nc_u64 s[0:1], s[2:3], s[0:1]
	s_delay_alu instid0(VALU_DEP_2) | instskip(SKIP_1) | instid1(VALU_DEP_1)
	v_mul_u32_u24_e32 v5, 25, v5
	s_mul_i32 s2, s14, 25
	v_sub_nc_u32_e32 v14, v4, v5
	s_delay_alu instid0(VALU_DEP_1)
	v_lshlrev_b32_e32 v4, 4, v14
	global_load_b128 v[4:7], v4, s[4:5] offset:80
	ds_load_2addr_b32 v[10:11], v3 offset0:4 offset1:254
	ds_load_2addr_b32 v[12:13], v2 offset1:250
	v_mul_hi_u32 v3, 0x10624de, v0
	v_mov_b32_e32 v0, v9
	ds_load_b32 v18, v2 offset:4000
	ds_load_u16 v19, v2 offset:2
	s_lshl_b64 s[4:5], s[20:21], 2
	v_mad_co_u64_u32 v[0:1], null, s13, v1, v[0:1]
	v_mad_u32_u24 v2, 0x7d, v3, v14
	v_mov_b32_e32 v1, 0
	s_wait_alu 0xfffe
	s_add_nc_u64 s[0:1], s[0:1], s[4:5]
	s_delay_alu instid0(VALU_DEP_3) | instskip(SKIP_3) | instid1(VALU_DEP_3)
	v_mov_b32_e32 v9, v0
	v_mul_lo_u32 v0, v2, s14
	s_wait_dscnt 0x3
	v_lshrrev_b32_e32 v20, 16, v10
	v_lshlrev_b64_e32 v[2:3], 2, v[8:9]
	s_wait_dscnt 0x2
	v_lshrrev_b32_e32 v21, 16, v13
	v_lshrrev_b32_e32 v22, 16, v11
	s_wait_dscnt 0x1
	v_lshrrev_b32_e32 v23, 16, v18
	v_lshlrev_b64_e32 v[8:9], 2, v[0:1]
	v_add_nc_u32_e32 v0, s2, v0
	s_wait_alu 0xfffe
	v_add_co_u32 v24, vcc_lo, s0, v2
	s_wait_alu 0xfffd
	v_add_co_ci_u32_e32 v25, vcc_lo, s1, v3, vcc_lo
	v_lshlrev_b64_e32 v[2:3], 2, v[0:1]
	v_add_nc_u32_e32 v0, s2, v0
	v_add_co_u32 v8, vcc_lo, v24, v8
	s_wait_alu 0xfffd
	v_add_co_ci_u32_e32 v9, vcc_lo, v25, v9, vcc_lo
	s_delay_alu instid0(VALU_DEP_3) | instskip(SKIP_4) | instid1(VALU_DEP_3)
	v_lshlrev_b64_e32 v[14:15], 2, v[0:1]
	v_add_nc_u32_e32 v0, s2, v0
	v_add_co_u32 v2, vcc_lo, v24, v2
	s_wait_alu 0xfffd
	v_add_co_ci_u32_e32 v3, vcc_lo, v25, v3, vcc_lo
	v_lshlrev_b64_e32 v[16:17], 2, v[0:1]
	v_add_nc_u32_e32 v0, s2, v0
	v_add_co_u32 v14, vcc_lo, v24, v14
	s_wait_alu 0xfffd
	v_add_co_ci_u32_e32 v15, vcc_lo, v25, v15, vcc_lo
	s_delay_alu instid0(VALU_DEP_3) | instskip(SKIP_3) | instid1(VALU_DEP_3)
	v_lshlrev_b64_e32 v[0:1], 2, v[0:1]
	v_add_co_u32 v16, vcc_lo, v24, v16
	s_wait_alu 0xfffd
	v_add_co_ci_u32_e32 v17, vcc_lo, v25, v17, vcc_lo
	v_add_co_u32 v0, vcc_lo, v24, v0
	s_wait_alu 0xfffd
	v_add_co_ci_u32_e32 v1, vcc_lo, v25, v1, vcc_lo
	s_wait_loadcnt 0x0
	v_lshrrev_b32_e32 v26, 16, v4
	v_lshrrev_b32_e32 v27, 16, v5
	;; [unrolled: 1-line block ×4, first 2 shown]
	s_delay_alu instid0(VALU_DEP_4) | instskip(NEXT) | instid1(VALU_DEP_4)
	v_mul_f16_e32 v25, v26, v13
	v_mul_f16_e32 v24, v27, v10
	s_delay_alu instid0(VALU_DEP_4) | instskip(NEXT) | instid1(VALU_DEP_4)
	v_mul_f16_e32 v30, v28, v11
	v_mul_f16_e32 v31, v29, v18
	;; [unrolled: 1-line block ×6, first 2 shown]
	v_fma_f16 v20, v5, v20, -v24
	v_fma_f16 v21, v4, v21, -v25
	;; [unrolled: 1-line block ×4, first 2 shown]
	v_fmac_f16_e32 v27, v5, v10
	v_fmac_f16_e32 v28, v6, v11
	;; [unrolled: 1-line block ×4, first 2 shown]
	v_sub_f16_e32 v4, v20, v21
	v_sub_f16_e32 v5, v22, v23
	v_add_f16_e32 v7, v21, v23
	v_sub_f16_e32 v11, v21, v20
	v_sub_f16_e32 v13, v23, v22
	v_add_f16_e32 v18, v20, v22
	v_add_f16_e32 v31, v26, v29
	v_add_f16_e32 v35, v27, v28
	s_wait_dscnt 0x0
	v_add_f16_e32 v24, v19, v21
	v_sub_f16_e32 v10, v26, v29
	v_sub_f16_e32 v25, v27, v26
	v_sub_f16_e32 v33, v26, v27
	v_add_f16_e32 v26, v26, v12
	v_sub_f16_e32 v21, v21, v23
	v_add_f16_e32 v4, v4, v5
	v_fma_f16 v5, -0.5, v7, v19
	v_add_f16_e32 v7, v11, v13
	v_fma_f16 v11, -0.5, v18, v19
	v_fma_f16 v19, -0.5, v31, v12
	;; [unrolled: 1-line block ×3, first 2 shown]
	v_sub_f16_e32 v6, v27, v28
	v_sub_f16_e32 v30, v28, v29
	;; [unrolled: 1-line block ×3, first 2 shown]
	v_add_f16_e32 v13, v24, v20
	v_add_f16_e32 v24, v26, v27
	v_sub_f16_e32 v34, v29, v28
	v_fmamk_f16 v26, v10, 0xbb9c, v11
	v_fmac_f16_e32 v11, 0x3b9c, v10
	v_fmamk_f16 v27, v21, 0x3b9c, v12
	v_fmac_f16_e32 v12, 0xbb9c, v21
	v_add_f16_e32 v18, v25, v30
	v_fmamk_f16 v25, v6, 0x3b9c, v5
	v_fmac_f16_e32 v5, 0xbb9c, v6
	v_add_f16_e32 v13, v13, v22
	;; [unrolled: 3-line block ×3, first 2 shown]
	v_add_f16_e32 v20, v33, v34
	v_fmac_f16_e32 v11, 0x38b4, v6
	v_fmac_f16_e32 v12, 0xb8b4, v32
	;; [unrolled: 1-line block ×8, first 2 shown]
	v_add_f16_e32 v6, v13, v23
	v_add_f16_e32 v10, v24, v29
	v_fmac_f16_e32 v11, 0x34f2, v7
	v_fmac_f16_e32 v12, 0x34f2, v20
	;; [unrolled: 1-line block ×8, first 2 shown]
	v_pack_b32_f16 v4, v10, v6
	v_pack_b32_f16 v6, v12, v11
	;; [unrolled: 1-line block ×5, first 2 shown]
	s_clause 0x4
	global_store_b32 v[8:9], v4, off
	global_store_b32 v[2:3], v6, off
	;; [unrolled: 1-line block ×5, first 2 shown]
.LBB0_19:
	s_nop 0
	s_sendmsg sendmsg(MSG_DEALLOC_VGPRS)
	s_endpgm
	.section	.rodata,"a",@progbits
	.p2align	6, 0x0
	.amdhsa_kernel fft_rtc_back_len125_factors_5_5_5_wgs_250_tpt_25_half_op_CI_CI_sbrc_unaligned_dirReg
		.amdhsa_group_segment_fixed_size 0
		.amdhsa_private_segment_fixed_size 0
		.amdhsa_kernarg_size 104
		.amdhsa_user_sgpr_count 2
		.amdhsa_user_sgpr_dispatch_ptr 0
		.amdhsa_user_sgpr_queue_ptr 0
		.amdhsa_user_sgpr_kernarg_segment_ptr 1
		.amdhsa_user_sgpr_dispatch_id 0
		.amdhsa_user_sgpr_private_segment_size 0
		.amdhsa_wavefront_size32 1
		.amdhsa_uses_dynamic_stack 0
		.amdhsa_enable_private_segment 0
		.amdhsa_system_sgpr_workgroup_id_x 1
		.amdhsa_system_sgpr_workgroup_id_y 0
		.amdhsa_system_sgpr_workgroup_id_z 0
		.amdhsa_system_sgpr_workgroup_info 0
		.amdhsa_system_vgpr_workitem_id 0
		.amdhsa_next_free_vgpr 36
		.amdhsa_next_free_sgpr 52
		.amdhsa_reserve_vcc 1
		.amdhsa_float_round_mode_32 0
		.amdhsa_float_round_mode_16_64 0
		.amdhsa_float_denorm_mode_32 3
		.amdhsa_float_denorm_mode_16_64 3
		.amdhsa_fp16_overflow 0
		.amdhsa_workgroup_processor_mode 1
		.amdhsa_memory_ordered 1
		.amdhsa_forward_progress 0
		.amdhsa_round_robin_scheduling 0
		.amdhsa_exception_fp_ieee_invalid_op 0
		.amdhsa_exception_fp_denorm_src 0
		.amdhsa_exception_fp_ieee_div_zero 0
		.amdhsa_exception_fp_ieee_overflow 0
		.amdhsa_exception_fp_ieee_underflow 0
		.amdhsa_exception_fp_ieee_inexact 0
		.amdhsa_exception_int_div_zero 0
	.end_amdhsa_kernel
	.text
.Lfunc_end0:
	.size	fft_rtc_back_len125_factors_5_5_5_wgs_250_tpt_25_half_op_CI_CI_sbrc_unaligned_dirReg, .Lfunc_end0-fft_rtc_back_len125_factors_5_5_5_wgs_250_tpt_25_half_op_CI_CI_sbrc_unaligned_dirReg
                                        ; -- End function
	.section	.AMDGPU.csdata,"",@progbits
; Kernel info:
; codeLenInByte = 4136
; NumSgprs: 54
; NumVgprs: 36
; ScratchSize: 0
; MemoryBound: 0
; FloatMode: 240
; IeeeMode: 1
; LDSByteSize: 0 bytes/workgroup (compile time only)
; SGPRBlocks: 6
; VGPRBlocks: 4
; NumSGPRsForWavesPerEU: 54
; NumVGPRsForWavesPerEU: 36
; Occupancy: 16
; WaveLimiterHint : 1
; COMPUTE_PGM_RSRC2:SCRATCH_EN: 0
; COMPUTE_PGM_RSRC2:USER_SGPR: 2
; COMPUTE_PGM_RSRC2:TRAP_HANDLER: 0
; COMPUTE_PGM_RSRC2:TGID_X_EN: 1
; COMPUTE_PGM_RSRC2:TGID_Y_EN: 0
; COMPUTE_PGM_RSRC2:TGID_Z_EN: 0
; COMPUTE_PGM_RSRC2:TIDIG_COMP_CNT: 0
	.text
	.p2alignl 7, 3214868480
	.fill 96, 4, 3214868480
	.type	__hip_cuid_e7b3e07daa8fb2d2,@object ; @__hip_cuid_e7b3e07daa8fb2d2
	.section	.bss,"aw",@nobits
	.globl	__hip_cuid_e7b3e07daa8fb2d2
__hip_cuid_e7b3e07daa8fb2d2:
	.byte	0                               ; 0x0
	.size	__hip_cuid_e7b3e07daa8fb2d2, 1

	.ident	"AMD clang version 19.0.0git (https://github.com/RadeonOpenCompute/llvm-project roc-6.4.0 25133 c7fe45cf4b819c5991fe208aaa96edf142730f1d)"
	.section	".note.GNU-stack","",@progbits
	.addrsig
	.addrsig_sym __hip_cuid_e7b3e07daa8fb2d2
	.amdgpu_metadata
---
amdhsa.kernels:
  - .args:
      - .actual_access:  read_only
        .address_space:  global
        .offset:         0
        .size:           8
        .value_kind:     global_buffer
      - .offset:         8
        .size:           8
        .value_kind:     by_value
      - .actual_access:  read_only
        .address_space:  global
        .offset:         16
        .size:           8
        .value_kind:     global_buffer
      - .actual_access:  read_only
        .address_space:  global
        .offset:         24
        .size:           8
        .value_kind:     global_buffer
      - .actual_access:  read_only
        .address_space:  global
        .offset:         32
        .size:           8
        .value_kind:     global_buffer
      - .offset:         40
        .size:           8
        .value_kind:     by_value
      - .actual_access:  read_only
        .address_space:  global
        .offset:         48
        .size:           8
        .value_kind:     global_buffer
      - .actual_access:  read_only
        .address_space:  global
        .offset:         56
        .size:           8
        .value_kind:     global_buffer
      - .offset:         64
        .size:           4
        .value_kind:     by_value
      - .actual_access:  read_only
        .address_space:  global
        .offset:         72
        .size:           8
        .value_kind:     global_buffer
      - .actual_access:  read_only
        .address_space:  global
        .offset:         80
        .size:           8
        .value_kind:     global_buffer
      - .actual_access:  read_only
        .address_space:  global
        .offset:         88
        .size:           8
        .value_kind:     global_buffer
      - .actual_access:  write_only
        .address_space:  global
        .offset:         96
        .size:           8
        .value_kind:     global_buffer
    .group_segment_fixed_size: 0
    .kernarg_segment_align: 8
    .kernarg_segment_size: 104
    .language:       OpenCL C
    .language_version:
      - 2
      - 0
    .max_flat_workgroup_size: 250
    .name:           fft_rtc_back_len125_factors_5_5_5_wgs_250_tpt_25_half_op_CI_CI_sbrc_unaligned_dirReg
    .private_segment_fixed_size: 0
    .sgpr_count:     54
    .sgpr_spill_count: 0
    .symbol:         fft_rtc_back_len125_factors_5_5_5_wgs_250_tpt_25_half_op_CI_CI_sbrc_unaligned_dirReg.kd
    .uniform_work_group_size: 1
    .uses_dynamic_stack: false
    .vgpr_count:     36
    .vgpr_spill_count: 0
    .wavefront_size: 32
    .workgroup_processor_mode: 1
amdhsa.target:   amdgcn-amd-amdhsa--gfx1201
amdhsa.version:
  - 1
  - 2
...

	.end_amdgpu_metadata
